;; amdgpu-corpus repo=ROCm/rocFFT kind=compiled arch=gfx950 opt=O3
	.text
	.amdgcn_target "amdgcn-amd-amdhsa--gfx950"
	.amdhsa_code_object_version 6
	.protected	fft_rtc_back_len192_factors_6_4_4_2_wgs_128_tpt_16_halfLds_sp_op_CI_CI_unitstride_sbrr_C2R_dirReg ; -- Begin function fft_rtc_back_len192_factors_6_4_4_2_wgs_128_tpt_16_halfLds_sp_op_CI_CI_unitstride_sbrr_C2R_dirReg
	.globl	fft_rtc_back_len192_factors_6_4_4_2_wgs_128_tpt_16_halfLds_sp_op_CI_CI_unitstride_sbrr_C2R_dirReg
	.p2align	8
	.type	fft_rtc_back_len192_factors_6_4_4_2_wgs_128_tpt_16_halfLds_sp_op_CI_CI_unitstride_sbrr_C2R_dirReg,@function
fft_rtc_back_len192_factors_6_4_4_2_wgs_128_tpt_16_halfLds_sp_op_CI_CI_unitstride_sbrr_C2R_dirReg: ; @fft_rtc_back_len192_factors_6_4_4_2_wgs_128_tpt_16_halfLds_sp_op_CI_CI_unitstride_sbrr_C2R_dirReg
; %bb.0:
	s_load_dwordx4 s[4:7], s[0:1], 0x58
	s_load_dwordx4 s[8:11], s[0:1], 0x0
	;; [unrolled: 1-line block ×3, first 2 shown]
	v_lshrrev_b32_e32 v1, 4, v0
	v_lshl_or_b32 v10, s2, 3, v1
	v_mov_b32_e32 v6, 0
	s_waitcnt lgkmcnt(0)
	v_cmp_lt_u64_e64 s[2:3], s[10:11], 2
	v_mov_b32_e32 v11, v6
	s_and_b64 vcc, exec, s[2:3]
	v_mov_b64_e32 v[8:9], 0
	s_cbranch_vccnz .LBB0_8
; %bb.1:
	s_load_dwordx2 s[2:3], s[0:1], 0x10
	s_add_u32 s16, s14, 8
	s_addc_u32 s17, s15, 0
	s_add_u32 s18, s12, 8
	s_addc_u32 s19, s13, 0
	s_waitcnt lgkmcnt(0)
	s_add_u32 s20, s2, 8
	v_mov_b64_e32 v[8:9], 0
	s_addc_u32 s21, s3, 0
	s_mov_b64 s[22:23], 1
	v_mov_b64_e32 v[2:3], v[8:9]
.LBB0_2:                                ; =>This Inner Loop Header: Depth=1
	s_load_dwordx2 s[24:25], s[20:21], 0x0
                                        ; implicit-def: $vgpr4_vgpr5
	s_waitcnt lgkmcnt(0)
	v_or_b32_e32 v7, s25, v11
	v_cmp_ne_u64_e32 vcc, 0, v[6:7]
	s_and_saveexec_b64 s[2:3], vcc
	s_xor_b64 s[26:27], exec, s[2:3]
	s_cbranch_execz .LBB0_4
; %bb.3:                                ;   in Loop: Header=BB0_2 Depth=1
	v_cvt_f32_u32_e32 v4, s24
	v_cvt_f32_u32_e32 v5, s25
	s_sub_u32 s2, 0, s24
	s_subb_u32 s3, 0, s25
	v_fmac_f32_e32 v4, 0x4f800000, v5
	v_rcp_f32_e32 v4, v4
	s_nop 0
	v_mul_f32_e32 v4, 0x5f7ffffc, v4
	v_mul_f32_e32 v5, 0x2f800000, v4
	v_trunc_f32_e32 v5, v5
	v_fmac_f32_e32 v4, 0xcf800000, v5
	v_cvt_u32_f32_e32 v7, v5
	v_cvt_u32_f32_e32 v14, v4
	v_mul_lo_u32 v4, s2, v7
	v_mul_hi_u32 v12, s2, v14
	v_mul_lo_u32 v5, s3, v14
	v_add_u32_e32 v12, v12, v4
	v_mul_lo_u32 v15, s2, v14
	v_add_u32_e32 v16, v12, v5
	v_mul_hi_u32 v4, v14, v15
	v_mul_hi_u32 v13, v14, v16
	v_mul_lo_u32 v12, v14, v16
	v_mov_b32_e32 v5, v6
	v_lshl_add_u64 v[4:5], v[4:5], 0, v[12:13]
	v_mul_hi_u32 v13, v7, v15
	v_mul_lo_u32 v15, v7, v15
	v_add_co_u32_e32 v4, vcc, v4, v15
	v_mul_hi_u32 v12, v7, v16
	s_nop 0
	v_addc_co_u32_e32 v4, vcc, v5, v13, vcc
	v_mov_b32_e32 v5, v6
	s_nop 0
	v_addc_co_u32_e32 v13, vcc, 0, v12, vcc
	v_mul_lo_u32 v12, v7, v16
	v_lshl_add_u64 v[4:5], v[4:5], 0, v[12:13]
	v_add_co_u32_e32 v14, vcc, v14, v4
	v_mul_lo_u32 v12, s2, v14
	s_nop 0
	v_addc_co_u32_e32 v7, vcc, v7, v5, vcc
	v_mul_lo_u32 v4, s2, v7
	v_mul_hi_u32 v5, s2, v14
	v_add_u32_e32 v4, v5, v4
	v_mul_lo_u32 v5, s3, v14
	v_add_u32_e32 v15, v4, v5
	v_mul_hi_u32 v17, v7, v12
	v_mul_lo_u32 v18, v7, v12
	v_mul_hi_u32 v5, v14, v15
	v_mul_lo_u32 v4, v14, v15
	v_mul_hi_u32 v12, v14, v12
	v_mov_b32_e32 v13, v6
	v_lshl_add_u64 v[4:5], v[12:13], 0, v[4:5]
	v_add_co_u32_e32 v4, vcc, v4, v18
	v_mul_hi_u32 v16, v7, v15
	s_nop 0
	v_addc_co_u32_e32 v4, vcc, v5, v17, vcc
	v_mul_lo_u32 v12, v7, v15
	s_nop 0
	v_addc_co_u32_e32 v13, vcc, 0, v16, vcc
	v_mov_b32_e32 v5, v6
	v_lshl_add_u64 v[4:5], v[4:5], 0, v[12:13]
	v_add_co_u32_e32 v14, vcc, v14, v4
	v_mul_hi_u32 v12, v10, v14
	s_nop 0
	v_addc_co_u32_e32 v7, vcc, v7, v5, vcc
	v_mad_u64_u32 v[4:5], s[2:3], v10, v7, 0
	v_mov_b32_e32 v13, v6
	v_lshl_add_u64 v[4:5], v[12:13], 0, v[4:5]
	v_mad_u64_u32 v[14:15], s[2:3], v11, v14, 0
	v_add_co_u32_e32 v4, vcc, v4, v14
	v_mad_u64_u32 v[12:13], s[2:3], v11, v7, 0
	s_nop 0
	v_addc_co_u32_e32 v4, vcc, v5, v15, vcc
	v_mov_b32_e32 v5, v6
	s_nop 0
	v_addc_co_u32_e32 v13, vcc, 0, v13, vcc
	v_lshl_add_u64 v[4:5], v[4:5], 0, v[12:13]
	v_mul_lo_u32 v7, s25, v4
	v_mul_lo_u32 v14, s24, v5
	v_mad_u64_u32 v[12:13], s[2:3], s24, v4, 0
	v_add3_u32 v7, v13, v14, v7
	v_sub_u32_e32 v13, v11, v7
	v_mov_b32_e32 v14, s25
	v_sub_co_u32_e32 v16, vcc, v10, v12
	s_nop 1
	v_subb_co_u32_e64 v12, s[2:3], v13, v14, vcc
	v_subrev_co_u32_e64 v13, s[2:3], s24, v16
	v_subb_co_u32_e32 v7, vcc, v11, v7, vcc
	s_nop 0
	v_subbrev_co_u32_e64 v12, s[2:3], 0, v12, s[2:3]
	v_cmp_le_u32_e64 s[2:3], s25, v12
	v_cmp_le_u32_e32 vcc, s25, v7
	s_nop 0
	v_cndmask_b32_e64 v14, 0, -1, s[2:3]
	v_cmp_le_u32_e64 s[2:3], s24, v13
	s_nop 1
	v_cndmask_b32_e64 v13, 0, -1, s[2:3]
	v_cmp_eq_u32_e64 s[2:3], s25, v12
	s_nop 1
	v_cndmask_b32_e64 v17, v14, v13, s[2:3]
	v_lshl_add_u64 v[12:13], v[4:5], 0, 2
	v_lshl_add_u64 v[14:15], v[4:5], 0, 1
	v_cmp_ne_u32_e64 s[2:3], 0, v17
	s_nop 1
	v_cndmask_b32_e64 v13, v15, v13, s[2:3]
	v_cndmask_b32_e64 v15, 0, -1, vcc
	v_cmp_le_u32_e32 vcc, s24, v16
	s_nop 1
	v_cndmask_b32_e64 v16, 0, -1, vcc
	v_cmp_eq_u32_e32 vcc, s25, v7
	s_nop 1
	v_cndmask_b32_e32 v7, v15, v16, vcc
	v_cmp_ne_u32_e32 vcc, 0, v7
	v_cndmask_b32_e64 v7, v14, v12, s[2:3]
	s_nop 0
	v_cndmask_b32_e32 v5, v5, v13, vcc
	v_cndmask_b32_e32 v4, v4, v7, vcc
.LBB0_4:                                ;   in Loop: Header=BB0_2 Depth=1
	s_andn2_saveexec_b64 s[2:3], s[26:27]
	s_cbranch_execz .LBB0_6
; %bb.5:                                ;   in Loop: Header=BB0_2 Depth=1
	v_cvt_f32_u32_e32 v4, s24
	s_sub_i32 s26, 0, s24
	v_rcp_iflag_f32_e32 v4, v4
	s_nop 0
	v_mul_f32_e32 v4, 0x4f7ffffe, v4
	v_cvt_u32_f32_e32 v4, v4
	v_mul_lo_u32 v5, s26, v4
	v_mul_hi_u32 v5, v4, v5
	v_add_u32_e32 v4, v4, v5
	v_mul_hi_u32 v4, v10, v4
	v_mul_lo_u32 v5, v4, s24
	v_sub_u32_e32 v5, v10, v5
	v_add_u32_e32 v7, 1, v4
	v_subrev_u32_e32 v12, s24, v5
	v_cmp_le_u32_e32 vcc, s24, v5
	s_nop 1
	v_cndmask_b32_e32 v5, v5, v12, vcc
	v_cndmask_b32_e32 v4, v4, v7, vcc
	v_add_u32_e32 v7, 1, v4
	v_cmp_le_u32_e32 vcc, s24, v5
	v_mov_b32_e32 v5, v6
	s_nop 0
	v_cndmask_b32_e32 v4, v4, v7, vcc
.LBB0_6:                                ;   in Loop: Header=BB0_2 Depth=1
	s_or_b64 exec, exec, s[2:3]
	v_mad_u64_u32 v[12:13], s[2:3], v4, s24, 0
	s_load_dwordx2 s[2:3], s[18:19], 0x0
	v_mul_lo_u32 v7, v5, s24
	v_mul_lo_u32 v14, v4, s25
	s_load_dwordx2 s[24:25], s[16:17], 0x0
	s_add_u32 s22, s22, 1
	v_add3_u32 v7, v13, v14, v7
	v_sub_co_u32_e32 v10, vcc, v10, v12
	s_addc_u32 s23, s23, 0
	s_nop 0
	v_subb_co_u32_e32 v7, vcc, v11, v7, vcc
	s_add_u32 s16, s16, 8
	s_waitcnt lgkmcnt(0)
	v_mul_lo_u32 v11, s2, v7
	v_mul_lo_u32 v12, s3, v10
	v_mad_u64_u32 v[8:9], s[2:3], s2, v10, v[8:9]
	s_addc_u32 s17, s17, 0
	v_add3_u32 v9, v12, v9, v11
	v_mul_lo_u32 v7, s24, v7
	v_mul_lo_u32 v11, s25, v10
	v_mad_u64_u32 v[2:3], s[2:3], s24, v10, v[2:3]
	s_add_u32 s18, s18, 8
	v_add3_u32 v3, v11, v3, v7
	s_addc_u32 s19, s19, 0
	v_mov_b64_e32 v[10:11], s[10:11]
	s_add_u32 s20, s20, 8
	v_cmp_ge_u64_e32 vcc, s[22:23], v[10:11]
	s_addc_u32 s21, s21, 0
	s_cbranch_vccnz .LBB0_9
; %bb.7:                                ;   in Loop: Header=BB0_2 Depth=1
	v_mov_b64_e32 v[10:11], v[4:5]
	s_branch .LBB0_2
.LBB0_8:
	v_mov_b64_e32 v[2:3], v[8:9]
	v_mov_b64_e32 v[4:5], v[10:11]
.LBB0_9:
	s_load_dwordx2 s[0:1], s[0:1], 0x28
	s_lshl_b64 s[16:17], s[10:11], 3
	s_add_u32 s2, s14, s16
	s_addc_u32 s3, s15, s17
	v_and_b32_e32 v6, 15, v0
	s_waitcnt lgkmcnt(0)
	v_cmp_gt_u64_e32 vcc, s[0:1], v[4:5]
	v_cmp_le_u64_e64 s[0:1], s[0:1], v[4:5]
                                        ; implicit-def: $vgpr10_vgpr11
	s_and_saveexec_b64 s[10:11], s[0:1]
	s_xor_b64 s[0:1], exec, s[10:11]
; %bb.10:
	v_and_b32_e32 v6, 15, v0
	v_mov_b32_e32 v7, 0
	v_mov_b64_e32 v[10:11], v[6:7]
                                        ; implicit-def: $vgpr8_vgpr9
; %bb.11:
	s_or_saveexec_b64 s[10:11], s[0:1]
	s_load_dwordx2 s[2:3], s[2:3], 0x0
	v_mul_u32_u24_e32 v12, 0xc1, v1
	v_lshlrev_b32_e32 v15, 3, v12
                                        ; implicit-def: $vgpr0
	s_xor_b64 exec, exec, s[10:11]
	s_cbranch_execz .LBB0_15
; %bb.12:
	s_add_u32 s0, s12, s16
	s_addc_u32 s1, s13, s17
	s_load_dwordx2 s[0:1], s[0:1], 0x0
	v_mov_b32_e32 v7, 0
	s_waitcnt lgkmcnt(0)
	v_mul_lo_u32 v10, s1, v4
	v_mul_lo_u32 v11, s0, v5
	v_mad_u64_u32 v[0:1], s[0:1], s0, v4, 0
	v_add3_u32 v1, v1, v11, v10
	v_lshl_add_u64 v[0:1], v[0:1], 3, s[4:5]
	v_lshl_add_u64 v[0:1], v[8:9], 3, v[0:1]
	v_lshlrev_b32_e32 v8, 3, v6
	v_mov_b32_e32 v9, v7
	v_lshl_add_u64 v[10:11], v[0:1], 0, v[8:9]
	global_load_dwordx2 v[16:17], v[10:11], off
	global_load_dwordx2 v[18:19], v[10:11], off offset:128
	global_load_dwordx2 v[20:21], v[10:11], off offset:256
	;; [unrolled: 1-line block ×11, first 2 shown]
	v_cmp_eq_u32_e64 s[0:1], 15, v6
	v_add3_u32 v8, 0, v15, v8
	v_mov_b64_e32 v[10:11], v[6:7]
	s_waitcnt vmcnt(10)
	ds_write2_b64 v8, v[16:17], v[18:19] offset1:16
	s_waitcnt vmcnt(8)
	ds_write2_b64 v8, v[20:21], v[22:23] offset0:32 offset1:48
	s_waitcnt vmcnt(6)
	ds_write2_b64 v8, v[24:25], v[26:27] offset0:64 offset1:80
	;; [unrolled: 2-line block ×5, first 2 shown]
	s_and_saveexec_b64 s[4:5], s[0:1]
	s_cbranch_execz .LBB0_14
; %bb.13:
	global_load_dwordx2 v[0:1], v[0:1], off offset:1536
	v_mov_b32_e32 v6, 15
	v_mov_b64_e32 v[10:11], 15
	s_waitcnt vmcnt(0)
	ds_write_b64 v8, v[0:1] offset:1416
.LBB0_14:
	s_or_b64 exec, exec, s[4:5]
	v_mov_b32_e32 v0, v6
.LBB0_15:
	s_or_b64 exec, exec, s[10:11]
	v_lshl_add_u32 v1, v12, 3, 0
	v_lshlrev_b32_e32 v17, 3, v6
	v_add_u32_e32 v14, v1, v17
	s_waitcnt lgkmcnt(0)
	s_barrier
	v_sub_u32_e32 v16, v1, v17
	ds_read_b32 v7, v14
	ds_read_b32 v8, v16 offset:1536
	v_cmp_ne_u32_e64 s[0:1], 0, v6
	s_waitcnt lgkmcnt(0)
	v_add_f32_e32 v12, v8, v7
	v_sub_f32_e32 v13, v7, v8
	v_lshl_add_u64 v[8:9], v[10:11], 3, s[8:9]
	s_and_saveexec_b64 s[4:5], s[0:1]
	s_xor_b64 s[0:1], exec, s[4:5]
	s_cbranch_execz .LBB0_17
; %bb.16:
	global_load_dwordx2 v[10:11], v[8:9], off offset:1488
	ds_read_b32 v7, v16 offset:1540
	ds_read_b32 v21, v14 offset:4
	v_mov_b32_e32 v18, v13
	v_mov_b32_e32 v20, v12
	;; [unrolled: 1-line block ×3, first 2 shown]
	s_waitcnt lgkmcnt(0)
	v_add_f32_e32 v19, v7, v21
	v_sub_f32_e32 v21, v21, v7
	v_mov_b32_e32 v22, v19
	s_waitcnt vmcnt(0)
	v_pk_mul_f32 v[24:25], v[18:19], v[10:11] op_sel:[0,1]
	v_pk_fma_f32 v[18:19], v[18:19], v[10:11], v[20:21] op_sel:[0,1,0]
	v_mov_b32_e32 v13, v25
	v_mov_b32_e32 v25, v21
	v_pk_fma_f32 v[26:27], v[10:11], v[22:23], v[18:19] neg_lo:[1,0,0] neg_hi:[1,0,0]
	v_pk_fma_f32 v[18:19], v[10:11], v[22:23], v[18:19] op_sel_hi:[0,1,1]
	v_pk_add_f32 v[12:13], v[12:13], v[24:25] neg_lo:[0,1] neg_hi:[0,1]
	v_mov_b32_e32 v27, v19
	v_pk_fma_f32 v[10:11], v[10:11], v[22:23], v[12:13] op_sel_hi:[0,1,1]
	ds_write_b64 v16, v[10:11] offset:1536
	v_mov_b64_e32 v[12:13], v[26:27]
.LBB0_17:
	s_andn2_saveexec_b64 s[0:1], s[0:1]
	s_cbranch_execz .LBB0_19
; %bb.18:
	ds_read_b64 v[10:11], v1 offset:768
	s_mov_b32 s4, 2.0
	s_mov_b32 s5, -2.0
	s_waitcnt lgkmcnt(0)
	v_pk_mul_f32 v[10:11], v[10:11], s[4:5]
	ds_write_b64 v1, v[10:11] offset:768
.LBB0_19:
	s_or_b64 exec, exec, s[0:1]
	s_add_u32 s0, s8, 0x5d0
	v_mov_b32_e32 v7, 0
	s_addc_u32 s1, s9, 0
	v_lshlrev_b64 v[10:11], 3, v[6:7]
	v_lshl_add_u64 v[18:19], s[0:1], 0, v[10:11]
	global_load_dwordx2 v[20:21], v[18:19], off offset:128
	global_load_dwordx2 v[22:23], v[18:19], off offset:256
	;; [unrolled: 1-line block ×3, first 2 shown]
	ds_write_b64 v14, v[12:13]
	ds_read_b64 v[12:13], v16 offset:1408
	ds_read_b64 v[26:27], v14 offset:128
	global_load_dwordx2 v[28:29], v[18:19], off offset:512
	s_mov_b32 s4, 0x3f5db3d7
	s_mov_b32 s10, 0.5
	s_mov_b32 s11, s4
	s_waitcnt lgkmcnt(0)
	v_pk_add_f32 v[30:31], v[26:27], v[12:13] neg_lo:[0,1] neg_hi:[0,1]
	v_pk_add_f32 v[12:13], v[26:27], v[12:13]
	v_mov_b32_e32 v26, v30
	v_mov_b32_e32 v27, v13
	;; [unrolled: 1-line block ×6, first 2 shown]
	s_mov_b32 s0, -0.5
	s_mov_b32 s1, s4
	v_or_b32_e32 v58, 16, v6
	s_waitcnt vmcnt(3)
	v_pk_mul_f32 v[36:37], v[26:27], v[20:21] op_sel:[0,1]
	v_pk_fma_f32 v[26:27], v[26:27], v[20:21], v[32:33] op_sel:[0,1,0]
	v_mov_b32_e32 v13, v37
	v_mov_b32_e32 v37, v31
	v_pk_fma_f32 v[32:33], v[20:21], v[34:35], v[26:27] neg_lo:[1,0,0] neg_hi:[1,0,0]
	v_pk_fma_f32 v[26:27], v[20:21], v[34:35], v[26:27] op_sel_hi:[0,1,1]
	v_pk_add_f32 v[12:13], v[12:13], v[36:37] neg_lo:[0,1] neg_hi:[0,1]
	v_mov_b32_e32 v33, v27
	v_pk_fma_f32 v[12:13], v[20:21], v[34:35], v[12:13] op_sel_hi:[0,1,1]
	ds_write_b64 v14, v[32:33] offset:128
	ds_write_b64 v16, v[12:13] offset:1408
	ds_read_b64 v[12:13], v16 offset:1280
	ds_read_b64 v[20:21], v14 offset:256
	global_load_dwordx2 v[18:19], v[18:19], off offset:640
	s_waitcnt lgkmcnt(0)
	v_pk_add_f32 v[26:27], v[20:21], v[12:13] neg_lo:[0,1] neg_hi:[0,1]
	v_pk_add_f32 v[12:13], v[20:21], v[12:13]
	v_mov_b32_e32 v20, v26
	v_mov_b32_e32 v21, v13
	v_mov_b32_e32 v30, v12
	v_mov_b32_e32 v31, v27
	s_waitcnt vmcnt(3)
	v_pk_mul_f32 v[34:35], v[20:21], v[22:23] op_sel:[0,1]
	v_mov_b32_e32 v32, v13
	v_mov_b32_e32 v33, v26
	v_pk_fma_f32 v[20:21], v[20:21], v[22:23], v[30:31] op_sel:[0,1,0]
	v_mov_b32_e32 v13, v35
	v_mov_b32_e32 v35, v27
	v_pk_fma_f32 v[30:31], v[22:23], v[32:33], v[20:21] neg_lo:[1,0,0] neg_hi:[1,0,0]
	v_pk_fma_f32 v[20:21], v[22:23], v[32:33], v[20:21] op_sel_hi:[0,1,1]
	v_pk_add_f32 v[12:13], v[12:13], v[34:35] neg_lo:[0,1] neg_hi:[0,1]
	v_mov_b32_e32 v31, v21
	v_pk_fma_f32 v[12:13], v[22:23], v[32:33], v[12:13] op_sel_hi:[0,1,1]
	ds_write_b64 v14, v[30:31] offset:256
	ds_write_b64 v16, v[12:13] offset:1280
	ds_read_b64 v[12:13], v16 offset:1152
	ds_read_b64 v[20:21], v14 offset:384
	s_waitcnt lgkmcnt(0)
	v_pk_add_f32 v[22:23], v[20:21], v[12:13] neg_lo:[0,1] neg_hi:[0,1]
	v_pk_add_f32 v[12:13], v[20:21], v[12:13]
	v_mov_b32_e32 v20, v22
	v_mov_b32_e32 v21, v13
	v_mov_b32_e32 v26, v12
	v_mov_b32_e32 v27, v23
	s_waitcnt vmcnt(2)
	v_pk_mul_f32 v[32:33], v[20:21], v[24:25] op_sel:[0,1]
	v_mov_b32_e32 v30, v13
	v_mov_b32_e32 v31, v22
	v_pk_fma_f32 v[20:21], v[20:21], v[24:25], v[26:27] op_sel:[0,1,0]
	v_mov_b32_e32 v13, v33
	v_mov_b32_e32 v33, v23
	v_pk_fma_f32 v[26:27], v[24:25], v[30:31], v[20:21] neg_lo:[1,0,0] neg_hi:[1,0,0]
	v_pk_fma_f32 v[20:21], v[24:25], v[30:31], v[20:21] op_sel_hi:[0,1,1]
	v_pk_add_f32 v[12:13], v[12:13], v[32:33] neg_lo:[0,1] neg_hi:[0,1]
	v_mov_b32_e32 v27, v21
	v_pk_fma_f32 v[12:13], v[24:25], v[30:31], v[12:13] op_sel_hi:[0,1,1]
	ds_write_b64 v14, v[26:27] offset:384
	ds_write_b64 v16, v[12:13] offset:1152
	ds_read_b64 v[12:13], v16 offset:1024
	ds_read_b64 v[20:21], v14 offset:512
	;; [unrolled: 23-line block ×3, first 2 shown]
	v_add3_u32 v12, 0, v17, v15
	v_mad_u32_u24 v13, v6, 40, v12
	s_waitcnt lgkmcnt(0)
	v_pk_add_f32 v[24:25], v[22:23], v[20:21] neg_lo:[0,1] neg_hi:[0,1]
	v_pk_add_f32 v[20:21], v[22:23], v[20:21]
	v_mov_b32_e32 v22, v24
	v_mov_b32_e32 v23, v21
	;; [unrolled: 1-line block ×4, first 2 shown]
	s_waitcnt vmcnt(0)
	v_pk_mul_f32 v[30:31], v[22:23], v[18:19] op_sel:[0,1]
	v_mov_b32_e32 v28, v21
	v_mov_b32_e32 v29, v24
	v_pk_fma_f32 v[22:23], v[22:23], v[18:19], v[26:27] op_sel:[0,1,0]
	v_mov_b32_e32 v21, v31
	v_mov_b32_e32 v31, v25
	v_pk_fma_f32 v[26:27], v[18:19], v[28:29], v[22:23] neg_lo:[1,0,0] neg_hi:[1,0,0]
	v_pk_fma_f32 v[22:23], v[18:19], v[28:29], v[22:23] op_sel_hi:[0,1,1]
	v_pk_add_f32 v[20:21], v[20:21], v[30:31] neg_lo:[0,1] neg_hi:[0,1]
	v_mov_b32_e32 v27, v23
	v_pk_fma_f32 v[18:19], v[18:19], v[28:29], v[20:21] op_sel_hi:[0,1,1]
	ds_write_b64 v14, v[26:27] offset:640
	ds_write_b64 v16, v[18:19] offset:896
	s_waitcnt lgkmcnt(0)
	s_barrier
	s_barrier
	ds_read2_b64 v[16:19], v12 offset0:48 offset1:64
	ds_read2_b64 v[20:23], v12 offset0:80 offset1:96
	ds_read_b64 v[36:37], v14
	ds_read2_b64 v[24:27], v12 offset0:144 offset1:160
	ds_read2_b64 v[28:31], v12 offset0:16 offset1:32
	;; [unrolled: 1-line block ×3, first 2 shown]
	ds_read_b64 v[38:39], v12 offset:1408
	s_waitcnt lgkmcnt(4)
	v_pk_add_f32 v[40:41], v[36:37], v[18:19]
	s_waitcnt lgkmcnt(3)
	v_pk_add_f32 v[42:43], v[22:23], v[26:27]
	v_pk_add_f32 v[44:45], v[22:23], v[26:27] neg_lo:[0,1] neg_hi:[0,1]
	s_waitcnt lgkmcnt(2)
	v_pk_add_f32 v[22:23], v[30:31], v[22:23]
	s_waitcnt lgkmcnt(1)
	v_pk_add_f32 v[48:49], v[18:19], v[34:35]
	v_pk_add_f32 v[22:23], v[22:23], v[26:27]
	v_fma_f32 v26, -0.5, v43, v31
	v_pk_add_f32 v[18:19], v[18:19], v[34:35] neg_lo:[0,1] neg_hi:[0,1]
	v_fma_f32 v30, -0.5, v42, v30
	v_fmamk_f32 v46, v44, 0x3f5db3d7, v26
	v_pk_mul_f32 v[18:19], v[18:19], s[4:5] op_sel_hi:[1,0]
	s_mov_b32 s5, s10
	v_fmamk_f32 v42, v45, 0xbf5db3d7, v30
	v_pk_fma_f32 v[36:37], v[48:49], 0.5, v[36:37] op_sel_hi:[1,0,1] neg_lo:[1,0,0] neg_hi:[1,0,0]
	v_pk_mul_f32 v[46:47], v[46:47], s[4:5] op_sel_hi:[0,1]
	v_pk_add_f32 v[40:41], v[40:41], v[34:35]
	v_fmac_f32_e32 v26, 0xbf5db3d7, v44
	v_pk_add_f32 v[34:35], v[36:37], v[18:19] op_sel:[0,1] op_sel_hi:[1,0] neg_lo:[0,1] neg_hi:[0,1]
	v_pk_add_f32 v[18:19], v[36:37], v[18:19] op_sel:[0,1] op_sel_hi:[1,0]
	v_pk_fma_f32 v[48:49], v[42:43], s[10:11], v[46:47] neg_lo:[0,0,1] neg_hi:[0,0,1]
	v_pk_fma_f32 v[42:43], v[42:43], s[10:11], v[46:47] op_sel_hi:[0,1,1]
	v_fmac_f32_e32 v30, 0x3f5db3d7, v45
	v_mov_b32_e32 v36, v34
	v_mov_b32_e32 v37, v19
	;; [unrolled: 1-line block ×3, first 2 shown]
	v_pk_mul_f32 v[26:27], v[26:27], s[4:5] op_sel_hi:[0,1]
	v_pk_add_f32 v[42:43], v[36:37], v[48:49]
	v_pk_fma_f32 v[26:27], v[30:31], s[0:1], v[26:27] op_sel_hi:[0,1,1] neg_lo:[0,0,1] neg_hi:[0,0,1]
	v_mov_b32_e32 v19, v35
	v_pk_add_f32 v[34:35], v[36:37], v[48:49] neg_lo:[0,1] neg_hi:[0,1]
	s_waitcnt lgkmcnt(0)
	v_pk_add_f32 v[36:37], v[32:33], v[38:39]
	v_pk_add_f32 v[44:45], v[40:41], v[22:23]
	;; [unrolled: 1-line block ×3, first 2 shown]
	v_pk_add_f32 v[22:23], v[40:41], v[22:23] neg_lo:[0,1] neg_hi:[0,1]
	v_pk_add_f32 v[18:19], v[18:19], v[26:27] neg_lo:[0,1] neg_hi:[0,1]
	v_fma_f32 v36, -0.5, v36, v16
	v_pk_add_f32 v[40:41], v[32:33], v[38:39] neg_lo:[0,1] neg_hi:[0,1]
	v_pk_add_f32 v[32:33], v[16:17], v[32:33]
	v_fma_f32 v16, -0.5, v37, v17
	v_pk_add_f32 v[26:27], v[28:29], v[20:21]
	v_pk_add_f32 v[32:33], v[32:33], v[38:39]
	v_fmamk_f32 v38, v40, 0x3f5db3d7, v16
	s_barrier
	ds_write2_b64 v13, v[44:45], v[42:43] offset1:1
	ds_write2_b64 v13, v[30:31], v[22:23] offset0:2 offset1:3
	ds_write2_b64 v13, v[34:35], v[18:19] offset0:4 offset1:5
	v_pk_add_f32 v[18:19], v[20:21], v[24:25]
	v_pk_add_f32 v[20:21], v[20:21], v[24:25] neg_lo:[0,1] neg_hi:[0,1]
	v_pk_add_f32 v[26:27], v[26:27], v[24:25]
	v_fmamk_f32 v46, v41, 0xbf5db3d7, v36
	v_fmac_f32_e32 v16, 0xbf5db3d7, v40
	v_pk_fma_f32 v[18:19], v[18:19], 0.5, v[28:29] op_sel_hi:[1,0,1] neg_lo:[1,0,0] neg_hi:[1,0,0]
	v_pk_mul_f32 v[20:21], v[20:21], s[4:5] op_sel_hi:[1,0]
	v_pk_mul_f32 v[24:25], v[38:39], s[4:5] op_sel_hi:[0,1]
	v_fmac_f32_e32 v36, 0x3f5db3d7, v41
	v_pk_add_f32 v[22:23], v[18:19], v[20:21] op_sel:[0,1] op_sel_hi:[1,0] neg_lo:[0,1] neg_hi:[0,1]
	v_pk_add_f32 v[18:19], v[18:19], v[20:21] op_sel:[0,1] op_sel_hi:[1,0]
	v_pk_fma_f32 v[28:29], v[46:47], s[10:11], v[24:25] neg_lo:[0,0,1] neg_hi:[0,0,1]
	v_pk_fma_f32 v[24:25], v[46:47], s[10:11], v[24:25] op_sel_hi:[0,1,1]
	v_pk_mul_f32 v[16:17], v[16:17], s[4:5] op_sel_hi:[0,1]
	v_mov_b32_e32 v20, v22
	v_mov_b32_e32 v21, v19
	;; [unrolled: 1-line block ×3, first 2 shown]
	v_pk_fma_f32 v[16:17], v[36:37], s[0:1], v[16:17] op_sel_hi:[0,1,1] neg_lo:[0,0,1] neg_hi:[0,0,1]
	v_mov_b32_e32 v19, v23
	v_pk_add_f32 v[24:25], v[20:21], v[28:29]
	v_pk_add_f32 v[22:23], v[18:19], v[16:17]
	v_pk_add_f32 v[20:21], v[20:21], v[28:29] neg_lo:[0,1] neg_hi:[0,1]
	v_pk_add_f32 v[16:17], v[18:19], v[16:17] neg_lo:[0,1] neg_hi:[0,1]
	s_movk_i32 s0, 0xff
	ds_write2_b64 v13, v[20:21], v[16:17] offset0:100 offset1:101
	v_bitop3_b16 v16, v6, s0, 32 bitop3:0xc8
	v_pk_add_f32 v[40:41], v[26:27], v[32:33]
	v_mul_lo_u16_e32 v16, 0xab, v16
	ds_write2_b64 v13, v[40:41], v[24:25] offset0:96 offset1:97
	v_lshrrev_b16_e32 v41, 10, v16
	v_or_b32_e32 v16, 32, v6
	v_mul_lo_u16_e32 v17, 6, v41
	v_sub_u16_e32 v42, v16, v17
	v_mov_b32_e32 v40, 3
	v_mul_lo_u16_e32 v16, 3, v42
	v_pk_add_f32 v[24:25], v[26:27], v[32:33] neg_lo:[0,1] neg_hi:[0,1]
	v_lshlrev_b32_sdwa v20, v40, v16 dst_sel:DWORD dst_unused:UNUSED_PAD src0_sel:DWORD src1_sel:BYTE_0
	s_movk_i32 s0, 0xab
	ds_write2_b64 v13, v[22:23], v[24:25] offset0:98 offset1:99
	s_waitcnt lgkmcnt(0)
	s_barrier
	global_load_dwordx4 v[16:19], v20, s[8:9]
	global_load_dwordx2 v[44:45], v20, s[8:9] offset:16
	v_mul_lo_u16_sdwa v20, v58, s0 dst_sel:DWORD dst_unused:UNUSED_PAD src0_sel:BYTE_0 src1_sel:DWORD
	v_lshrrev_b16_e32 v43, 10, v20
	v_mul_lo_u16_e32 v20, 6, v43
	v_sub_u16_e32 v50, v58, v20
	v_mul_lo_u16_e32 v20, 3, v50
	v_lshlrev_b32_sdwa v24, v40, v20 dst_sel:DWORD dst_unused:UNUSED_PAD src0_sel:DWORD src1_sel:BYTE_0
	global_load_dwordx4 v[20:23], v24, s[8:9]
	global_load_dwordx2 v[46:47], v24, s[8:9] offset:16
	v_mul_lo_u16_sdwa v24, v6, s0 dst_sel:DWORD dst_unused:UNUSED_PAD src0_sel:BYTE_0 src1_sel:DWORD
	v_lshrrev_b16_e32 v51, 10, v24
	v_mul_lo_u16_e32 v24, 6, v51
	v_sub_u16_e32 v52, v6, v24
	v_mul_lo_u16_e32 v24, 3, v52
	v_lshlrev_b32_sdwa v28, v40, v24 dst_sel:DWORD dst_unused:UNUSED_PAD src0_sel:DWORD src1_sel:BYTE_0
	global_load_dwordx4 v[24:27], v28, s[8:9]
	global_load_dwordx2 v[48:49], v28, s[8:9] offset:16
	s_movk_i32 s0, 0xffd8
	v_mul_lo_u16_e32 v51, 24, v51
	v_mad_i32_i24 v13, v6, s0, v13
	v_or_b32_e32 v51, v51, v52
	v_mul_lo_u16_e32 v43, 24, v43
	ds_read2_b64 v[28:31], v13 offset0:48 offset1:64
	ds_read2_b64 v[32:35], v12 offset0:96 offset1:112
	;; [unrolled: 1-line block ×3, first 2 shown]
	v_lshlrev_b32_sdwa v59, v40, v51 dst_sel:DWORD dst_unused:UNUSED_PAD src0_sel:DWORD src1_sel:BYTE_0
	v_or_b32_e32 v43, v43, v50
	ds_read_b64 v[50:51], v13 offset:640
	v_mul_lo_u16_e32 v41, 24, v41
	v_or_b32_e32 v41, v41, v42
	v_lshlrev_b32_sdwa v60, v40, v43 dst_sel:DWORD dst_unused:UNUSED_PAD src0_sel:DWORD src1_sel:BYTE_0
	v_lshlrev_b32_sdwa v61, v40, v41 dst_sel:DWORD dst_unused:UNUSED_PAD src0_sel:DWORD src1_sel:BYTE_0
	ds_read2_b64 v[40:43], v12 offset0:160 offset1:176
	ds_read_b64 v[52:53], v14
	v_cmp_gt_u32_e64 s[0:1], 24, v58
	s_waitcnt vmcnt(5) lgkmcnt(2)
	v_pk_mul_f32 v[54:55], v[50:51], v[16:17] op_sel:[0,1]
	s_nop 0
	v_pk_fma_f32 v[56:57], v[50:51], v[16:17], v[54:55] op_sel:[0,0,1] op_sel_hi:[1,1,0]
	v_pk_fma_f32 v[16:17], v[50:51], v[16:17], v[54:55] op_sel:[0,0,1] op_sel_hi:[1,0,0] neg_lo:[0,0,1] neg_hi:[0,0,1]
	v_add3_u32 v54, 0, v59, v15
	v_mov_b32_e32 v16, v19
	v_mov_b32_e32 v57, v17
	v_pk_mul_f32 v[16:17], v[36:37], v[16:17] op_sel_hi:[1,0]
	v_add3_u32 v55, 0, v60, v15
	v_pk_fma_f32 v[50:51], v[36:37], v[18:19], v[16:17] op_sel:[0,0,1] op_sel_hi:[1,1,0]
	v_pk_fma_f32 v[16:17], v[36:37], v[18:19], v[16:17] op_sel:[0,0,1] op_sel_hi:[1,0,0] neg_lo:[0,0,1] neg_hi:[0,0,1]
	v_add3_u32 v59, 0, v61, v15
	v_mov_b32_e32 v51, v17
	s_waitcnt vmcnt(4) lgkmcnt(1)
	v_pk_mul_f32 v[16:17], v[42:43], v[44:45] op_sel:[0,1]
	s_nop 0
	v_pk_fma_f32 v[36:37], v[42:43], v[44:45], v[16:17] op_sel:[0,0,1] op_sel_hi:[1,1,0]
	v_pk_fma_f32 v[42:43], v[42:43], v[44:45], v[16:17] op_sel:[0,0,1] op_sel_hi:[1,0,0] neg_lo:[0,0,1] neg_hi:[0,0,1]
	s_waitcnt vmcnt(3)
	v_pk_mul_f32 v[16:17], v[20:21], v[30:31] op_sel:[0,1]
	v_mov_b32_e32 v37, v43
	v_pk_fma_f32 v[44:45], v[20:21], v[30:31], v[16:17] op_sel:[0,0,1] op_sel_hi:[1,1,0]
	v_pk_fma_f32 v[20:21], v[20:21], v[30:31], v[16:17] op_sel:[0,0,1] op_sel_hi:[1,0,0] neg_lo:[1,0,0] neg_hi:[1,0,0]
	v_mov_b32_e32 v16, v23
	v_pk_mul_f32 v[16:17], v[34:35], v[16:17] op_sel_hi:[1,0]
	v_mov_b32_e32 v45, v21
	v_pk_fma_f32 v[30:31], v[34:35], v[22:23], v[16:17] op_sel:[0,0,1] op_sel_hi:[1,1,0]
	v_pk_fma_f32 v[22:23], v[34:35], v[22:23], v[16:17] op_sel:[0,0,1] op_sel_hi:[1,0,0] neg_lo:[0,0,1] neg_hi:[0,0,1]
	ds_read2_b64 v[16:19], v13 offset0:16 offset1:32
	s_waitcnt vmcnt(2)
	v_pk_mul_f32 v[20:21], v[40:41], v[46:47] op_sel:[0,1]
	v_mov_b32_e32 v31, v23
	v_pk_fma_f32 v[22:23], v[40:41], v[46:47], v[20:21] op_sel:[0,0,1] op_sel_hi:[1,1,0]
	v_pk_fma_f32 v[20:21], v[40:41], v[46:47], v[20:21] op_sel:[0,0,1] op_sel_hi:[1,0,0] neg_lo:[0,0,1] neg_hi:[0,0,1]
	s_waitcnt vmcnt(1)
	v_pk_mul_f32 v[40:41], v[24:25], v[28:29] op_sel:[0,1]
	v_mov_b32_e32 v23, v21
	v_pk_add_f32 v[22:23], v[44:45], v[22:23] neg_lo:[0,1] neg_hi:[0,1]
	s_waitcnt lgkmcnt(0)
	v_pk_add_f32 v[20:21], v[16:17], v[30:31] neg_lo:[0,1] neg_hi:[0,1]
	v_pk_fma_f32 v[30:31], v[44:45], 2.0, v[22:23] op_sel_hi:[1,0,1] neg_lo:[0,0,1] neg_hi:[0,0,1]
	v_pk_fma_f32 v[44:45], v[24:25], v[28:29], v[40:41] op_sel:[0,0,1] op_sel_hi:[1,1,0]
	v_pk_fma_f32 v[24:25], v[24:25], v[28:29], v[40:41] op_sel:[0,0,1] op_sel_hi:[1,0,0] neg_lo:[1,0,0] neg_hi:[1,0,0]
	v_pk_fma_f32 v[16:17], v[16:17], 2.0, v[20:21] op_sel_hi:[1,0,1] neg_lo:[0,0,1] neg_hi:[0,0,1]
	v_mov_b32_e32 v45, v25
	v_pk_mul_f32 v[24:25], v[26:27], v[32:33] op_sel:[0,1]
	s_nop 0
	v_pk_fma_f32 v[28:29], v[26:27], v[32:33], v[24:25] op_sel:[0,0,1] op_sel_hi:[1,1,0]
	v_pk_fma_f32 v[24:25], v[26:27], v[32:33], v[24:25] op_sel:[0,0,1] op_sel_hi:[1,0,0] neg_lo:[1,0,0] neg_hi:[1,0,0]
	s_barrier
	v_mov_b32_e32 v29, v25
	s_waitcnt vmcnt(0)
	v_pk_mul_f32 v[24:25], v[48:49], v[38:39] op_sel:[0,1]
	s_nop 0
	v_pk_fma_f32 v[26:27], v[48:49], v[38:39], v[24:25] op_sel:[0,0,1] op_sel_hi:[1,1,0]
	v_pk_fma_f32 v[24:25], v[48:49], v[38:39], v[24:25] op_sel:[0,0,1] op_sel_hi:[1,0,0] neg_lo:[1,0,0] neg_hi:[1,0,0]
	v_pk_add_f32 v[30:31], v[16:17], v[30:31] neg_lo:[0,1] neg_hi:[0,1]
	v_mov_b32_e32 v27, v25
	v_pk_add_f32 v[24:25], v[52:53], v[28:29] neg_lo:[0,1] neg_hi:[0,1]
	v_pk_add_f32 v[26:27], v[44:45], v[26:27] neg_lo:[0,1] neg_hi:[0,1]
	v_pk_fma_f32 v[28:29], v[52:53], 2.0, v[24:25] op_sel_hi:[1,0,1] neg_lo:[0,0,1] neg_hi:[0,0,1]
	v_pk_fma_f32 v[32:33], v[44:45], 2.0, v[26:27] op_sel_hi:[1,0,1] neg_lo:[0,0,1] neg_hi:[0,0,1]
	v_pk_add_f32 v[38:39], v[24:25], v[26:27] op_sel:[0,1] op_sel_hi:[1,0]
	v_pk_add_f32 v[26:27], v[24:25], v[26:27] op_sel:[0,1] op_sel_hi:[1,0] neg_lo:[0,1] neg_hi:[0,1]
	v_pk_add_f32 v[32:33], v[28:29], v[32:33] neg_lo:[0,1] neg_hi:[0,1]
	v_mov_b32_e32 v39, v27
	v_pk_fma_f32 v[28:29], v[28:29], 2.0, v[32:33] op_sel_hi:[1,0,1] neg_lo:[0,0,1] neg_hi:[0,0,1]
	v_pk_fma_f32 v[24:25], v[24:25], 2.0, v[38:39] op_sel_hi:[1,0,1] neg_lo:[0,0,1] neg_hi:[0,0,1]
	ds_write2_b64 v54, v[28:29], v[24:25] offset1:6
	ds_write2_b64 v54, v[32:33], v[38:39] offset0:12 offset1:18
	v_pk_add_f32 v[24:25], v[20:21], v[22:23] op_sel:[0,1] op_sel_hi:[1,0]
	v_pk_add_f32 v[22:23], v[20:21], v[22:23] op_sel:[0,1] op_sel_hi:[1,0] neg_lo:[0,1] neg_hi:[0,1]
	v_pk_add_f32 v[34:35], v[18:19], v[50:51] neg_lo:[0,1] neg_hi:[0,1]
	v_mov_b32_e32 v25, v23
	v_pk_add_f32 v[36:37], v[56:57], v[36:37] neg_lo:[0,1] neg_hi:[0,1]
	v_pk_fma_f32 v[16:17], v[16:17], 2.0, v[30:31] op_sel_hi:[1,0,1] neg_lo:[0,0,1] neg_hi:[0,0,1]
	v_pk_fma_f32 v[20:21], v[20:21], 2.0, v[24:25] op_sel_hi:[1,0,1] neg_lo:[0,0,1] neg_hi:[0,0,1]
	;; [unrolled: 1-line block ×4, first 2 shown]
	ds_write2_b64 v55, v[16:17], v[20:21] offset1:6
	ds_write2_b64 v55, v[30:31], v[24:25] offset0:12 offset1:18
	v_pk_add_f32 v[16:17], v[34:35], v[36:37] op_sel:[0,1] op_sel_hi:[1,0]
	v_pk_add_f32 v[20:21], v[34:35], v[36:37] op_sel:[0,1] op_sel_hi:[1,0] neg_lo:[0,1] neg_hi:[0,1]
	v_pk_add_f32 v[42:43], v[18:19], v[42:43] neg_lo:[0,1] neg_hi:[0,1]
	v_mov_b32_e32 v17, v21
	v_pk_fma_f32 v[18:19], v[18:19], 2.0, v[42:43] op_sel_hi:[1,0,1] neg_lo:[0,0,1] neg_hi:[0,0,1]
	v_pk_fma_f32 v[20:21], v[34:35], 2.0, v[16:17] op_sel_hi:[1,0,1] neg_lo:[0,0,1] neg_hi:[0,0,1]
	ds_write2_b64 v59, v[18:19], v[20:21] offset1:6
	ds_write2_b64 v59, v[42:43], v[16:17] offset0:12 offset1:18
	v_mul_u32_u24_e32 v16, 3, v6
	v_lshlrev_b32_e32 v24, 3, v16
	s_waitcnt lgkmcnt(0)
	s_barrier
	global_load_dwordx4 v[16:19], v24, s[8:9] offset:144
	global_load_dwordx2 v[40:41], v24, s[8:9] offset:160
	global_load_dwordx4 v[20:23], v24, s[8:9] offset:336
	global_load_dwordx2 v[42:43], v24, s[8:9] offset:352
	v_add_u32_e32 v6, -8, v6
	v_cndmask_b32_e64 v52, v6, v58, s[0:1]
	v_mul_i32_i24_e32 v6, 3, v52
	v_lshl_add_u64 v[28:29], v[6:7], 3, s[8:9]
	global_load_dwordx4 v[24:27], v[28:29], off offset:144
	global_load_dwordx2 v[44:45], v[28:29], off offset:160
	ds_read2_b64 v[28:31], v13 offset0:48 offset1:64
	ds_read2_b64 v[32:35], v12 offset0:96 offset1:112
	ds_read2_b64 v[36:39], v12 offset0:128 offset1:144
	v_mov_b32_e32 v6, 0x60
	v_cmp_lt_u32_e64 s[0:1], 23, v58
	s_waitcnt vmcnt(5) lgkmcnt(2)
	v_pk_mul_f32 v[46:47], v[16:17], v[28:29] op_sel:[0,1]
	s_nop 0
	v_pk_fma_f32 v[48:49], v[16:17], v[28:29], v[46:47] op_sel:[0,0,1] op_sel_hi:[1,1,0]
	v_pk_fma_f32 v[16:17], v[16:17], v[28:29], v[46:47] op_sel:[0,0,1] op_sel_hi:[1,0,0] neg_lo:[1,0,0] neg_hi:[1,0,0]
	ds_read_b64 v[46:47], v13 offset:640
	v_mov_b32_e32 v49, v17
	s_waitcnt lgkmcnt(2)
	v_pk_mul_f32 v[16:17], v[18:19], v[32:33] op_sel:[0,1]
	v_cndmask_b32_e64 v6, 0, v6, s[0:1]
	v_pk_fma_f32 v[28:29], v[18:19], v[32:33], v[16:17] op_sel:[0,0,1] op_sel_hi:[1,1,0]
	v_pk_fma_f32 v[16:17], v[18:19], v[32:33], v[16:17] op_sel:[0,0,1] op_sel_hi:[1,0,0] neg_lo:[1,0,0] neg_hi:[1,0,0]
	ds_read_b64 v[18:19], v14
	v_mov_b32_e32 v29, v17
	s_waitcnt vmcnt(4) lgkmcnt(2)
	v_pk_mul_f32 v[16:17], v[40:41], v[38:39] op_sel:[0,1]
	v_or_b32_e32 v6, v6, v52
	v_pk_fma_f32 v[32:33], v[40:41], v[38:39], v[16:17] op_sel:[0,0,1] op_sel_hi:[1,1,0]
	v_pk_fma_f32 v[16:17], v[40:41], v[38:39], v[16:17] op_sel:[0,0,1] op_sel_hi:[1,0,0] neg_lo:[1,0,0] neg_hi:[1,0,0]
	v_lshlrev_b32_e32 v6, 3, v6
	v_mov_b32_e32 v33, v17
	s_waitcnt lgkmcnt(0)
	v_pk_add_f32 v[16:17], v[18:19], v[28:29] neg_lo:[0,1] neg_hi:[0,1]
	v_pk_add_f32 v[28:29], v[48:49], v[32:33] neg_lo:[0,1] neg_hi:[0,1]
	v_pk_fma_f32 v[18:19], v[18:19], 2.0, v[16:17] op_sel_hi:[1,0,1] neg_lo:[0,0,1] neg_hi:[0,0,1]
	v_pk_fma_f32 v[32:33], v[48:49], 2.0, v[28:29] op_sel_hi:[1,0,1] neg_lo:[0,0,1] neg_hi:[0,0,1]
	v_pk_add_f32 v[50:51], v[16:17], v[28:29] op_sel:[0,1] op_sel_hi:[1,0]
	v_pk_add_f32 v[32:33], v[18:19], v[32:33] neg_lo:[0,1] neg_hi:[0,1]
	s_waitcnt vmcnt(3)
	v_pk_mul_f32 v[52:53], v[46:47], v[20:21] op_sel:[0,1]
	v_pk_fma_f32 v[48:49], v[18:19], 2.0, v[32:33] op_sel_hi:[1,0,1] neg_lo:[0,0,1] neg_hi:[0,0,1]
	v_pk_add_f32 v[18:19], v[16:17], v[28:29] op_sel:[0,1] op_sel_hi:[1,0] neg_lo:[0,1] neg_hi:[0,1]
	v_add3_u32 v15, 0, v6, v15
	v_mov_b32_e32 v51, v19
	v_pk_fma_f32 v[28:29], v[16:17], 2.0, v[50:51] op_sel_hi:[1,0,1] neg_lo:[0,0,1] neg_hi:[0,0,1]
	ds_read2_b64 v[16:19], v13 offset0:16 offset1:32
	ds_read2_b64 v[38:41], v12 offset0:160 offset1:176
	v_pk_fma_f32 v[54:55], v[46:47], v[20:21], v[52:53] op_sel:[0,0,1] op_sel_hi:[1,1,0]
	v_pk_fma_f32 v[20:21], v[46:47], v[20:21], v[52:53] op_sel:[0,0,1] op_sel_hi:[1,0,0] neg_lo:[0,0,1] neg_hi:[0,0,1]
	v_mov_b32_e32 v6, v23
	v_mov_b32_e32 v55, v21
	v_pk_mul_f32 v[20:21], v[36:37], v[6:7] op_sel_hi:[1,0]
	s_waitcnt lgkmcnt(0)
	v_pk_fma_f32 v[46:47], v[36:37], v[22:23], v[20:21] op_sel:[0,0,1] op_sel_hi:[1,1,0]
	v_pk_fma_f32 v[20:21], v[36:37], v[22:23], v[20:21] op_sel:[0,0,1] op_sel_hi:[1,0,0] neg_lo:[0,0,1] neg_hi:[0,0,1]
	s_barrier
	v_mov_b32_e32 v47, v21
	s_waitcnt vmcnt(2)
	v_pk_mul_f32 v[20:21], v[40:41], v[42:43] op_sel:[0,1]
	s_nop 0
	v_pk_fma_f32 v[22:23], v[40:41], v[42:43], v[20:21] op_sel:[0,0,1] op_sel_hi:[1,1,0]
	v_pk_fma_f32 v[20:21], v[40:41], v[42:43], v[20:21] op_sel:[0,0,1] op_sel_hi:[1,0,0] neg_lo:[0,0,1] neg_hi:[0,0,1]
	s_waitcnt vmcnt(1)
	v_pk_mul_f32 v[40:41], v[24:25], v[30:31] op_sel:[0,1]
	v_mov_b32_e32 v23, v21
	v_pk_fma_f32 v[42:43], v[24:25], v[30:31], v[40:41] op_sel:[0,0,1] op_sel_hi:[1,1,0]
	v_pk_fma_f32 v[24:25], v[24:25], v[30:31], v[40:41] op_sel:[0,0,1] op_sel_hi:[1,0,0] neg_lo:[1,0,0] neg_hi:[1,0,0]
	v_pk_add_f32 v[20:21], v[18:19], v[46:47] neg_lo:[0,1] neg_hi:[0,1]
	v_mov_b32_e32 v43, v25
	v_pk_mul_f32 v[24:25], v[26:27], v[34:35] op_sel:[0,1]
	v_pk_add_f32 v[22:23], v[54:55], v[22:23] neg_lo:[0,1] neg_hi:[0,1]
	v_pk_fma_f32 v[30:31], v[26:27], v[34:35], v[24:25] op_sel:[0,0,1] op_sel_hi:[1,1,0]
	v_pk_fma_f32 v[24:25], v[26:27], v[34:35], v[24:25] op_sel:[0,0,1] op_sel_hi:[1,0,0] neg_lo:[1,0,0] neg_hi:[1,0,0]
	v_pk_fma_f32 v[18:19], v[18:19], 2.0, v[20:21] op_sel_hi:[1,0,1] neg_lo:[0,0,1] neg_hi:[0,0,1]
	v_mov_b32_e32 v31, v25
	s_waitcnt vmcnt(0)
	v_pk_mul_f32 v[24:25], v[38:39], v[44:45] op_sel:[0,1]
	v_pk_fma_f32 v[36:37], v[54:55], 2.0, v[22:23] op_sel_hi:[1,0,1] neg_lo:[0,0,1] neg_hi:[0,0,1]
	v_pk_fma_f32 v[26:27], v[38:39], v[44:45], v[24:25] op_sel:[0,0,1] op_sel_hi:[1,1,0]
	v_pk_fma_f32 v[24:25], v[38:39], v[44:45], v[24:25] op_sel:[0,0,1] op_sel_hi:[1,0,0] neg_lo:[0,0,1] neg_hi:[0,0,1]
	ds_write2_b64 v12, v[48:49], v[28:29] offset1:24
	ds_write2_b64 v12, v[32:33], v[50:51] offset0:48 offset1:72
	v_mov_b32_e32 v27, v25
	v_pk_add_f32 v[24:25], v[16:17], v[30:31] neg_lo:[0,1] neg_hi:[0,1]
	v_pk_add_f32 v[26:27], v[42:43], v[26:27] neg_lo:[0,1] neg_hi:[0,1]
	v_pk_fma_f32 v[16:17], v[16:17], 2.0, v[24:25] op_sel_hi:[1,0,1] neg_lo:[0,0,1] neg_hi:[0,0,1]
	v_pk_fma_f32 v[30:31], v[42:43], 2.0, v[26:27] op_sel_hi:[1,0,1] neg_lo:[0,0,1] neg_hi:[0,0,1]
	v_pk_add_f32 v[28:29], v[24:25], v[26:27] op_sel:[0,1] op_sel_hi:[1,0]
	v_pk_add_f32 v[26:27], v[24:25], v[26:27] op_sel:[0,1] op_sel_hi:[1,0] neg_lo:[0,1] neg_hi:[0,1]
	v_pk_add_f32 v[36:37], v[18:19], v[36:37] neg_lo:[0,1] neg_hi:[0,1]
	v_pk_add_f32 v[30:31], v[16:17], v[30:31] neg_lo:[0,1] neg_hi:[0,1]
	v_mov_b32_e32 v29, v27
	v_pk_fma_f32 v[18:19], v[18:19], 2.0, v[36:37] op_sel_hi:[1,0,1] neg_lo:[0,0,1] neg_hi:[0,0,1]
	v_pk_fma_f32 v[16:17], v[16:17], 2.0, v[30:31] op_sel_hi:[1,0,1] neg_lo:[0,0,1] neg_hi:[0,0,1]
	;; [unrolled: 1-line block ×3, first 2 shown]
	ds_write2_b64 v15, v[16:17], v[24:25] offset1:24
	ds_write2_b64 v15, v[30:31], v[28:29] offset0:48 offset1:72
	ds_write_b64 v13, v[18:19] offset:832
	v_pk_add_f32 v[16:17], v[20:21], v[22:23] op_sel:[0,1] op_sel_hi:[1,0]
	v_pk_add_f32 v[18:19], v[20:21], v[22:23] op_sel:[0,1] op_sel_hi:[1,0] neg_lo:[0,1] neg_hi:[0,1]
	s_nop 0
	v_mov_b32_e32 v17, v19
	v_pk_fma_f32 v[18:19], v[20:21], 2.0, v[16:17] op_sel_hi:[1,0,1] neg_lo:[0,0,1] neg_hi:[0,0,1]
	ds_write2_b64 v12, v[18:19], v[36:37] offset0:128 offset1:152
	ds_write_b64 v12, v[16:17] offset:1408
	s_waitcnt lgkmcnt(0)
	s_barrier
	global_load_dwordx2 v[24:25], v[8:9], off offset:720
	v_lshl_add_u64 v[8:9], s[8:9], 0, v[10:11]
	global_load_dwordx2 v[28:29], v[8:9], off offset:848
	global_load_dwordx2 v[30:31], v[8:9], off offset:976
	;; [unrolled: 1-line block ×5, first 2 shown]
	ds_read2_b64 v[8:11], v12 offset0:96 offset1:112
	ds_read2_b64 v[16:19], v12 offset0:128 offset1:144
	;; [unrolled: 1-line block ×3, first 2 shown]
	ds_read_b64 v[14:15], v14
	ds_read_b64 v[40:41], v13 offset:640
	s_waitcnt vmcnt(5) lgkmcnt(4)
	v_pk_mul_f32 v[26:27], v[24:25], v[8:9] op_sel:[0,1]
	s_nop 0
	v_pk_fma_f32 v[38:39], v[24:25], v[8:9], v[26:27] op_sel:[0,0,1] op_sel_hi:[1,1,0]
	v_pk_fma_f32 v[8:9], v[24:25], v[8:9], v[26:27] op_sel:[0,0,1] op_sel_hi:[1,0,0] neg_lo:[1,0,0] neg_hi:[1,0,0]
	ds_read2_b64 v[24:27], v13 offset0:16 offset1:32
	v_mov_b32_e32 v39, v9
	s_waitcnt vmcnt(4)
	v_pk_mul_f32 v[8:9], v[28:29], v[10:11] op_sel:[0,1]
	s_waitcnt lgkmcnt(2)
	v_pk_add_f32 v[38:39], v[14:15], v[38:39] neg_lo:[0,1] neg_hi:[0,1]
	v_pk_fma_f32 v[42:43], v[28:29], v[10:11], v[8:9] op_sel:[0,0,1] op_sel_hi:[1,1,0]
	v_pk_fma_f32 v[8:9], v[28:29], v[10:11], v[8:9] op_sel:[0,0,1] op_sel_hi:[1,0,0] neg_lo:[1,0,0] neg_hi:[1,0,0]
	v_pk_fma_f32 v[14:15], v[14:15], 2.0, v[38:39] op_sel_hi:[1,0,1] neg_lo:[0,0,1] neg_hi:[0,0,1]
	v_mov_b32_e32 v43, v9
	s_waitcnt vmcnt(3)
	v_pk_mul_f32 v[8:9], v[30:31], v[16:17] op_sel:[0,1]
	s_waitcnt lgkmcnt(0)
	v_pk_add_f32 v[28:29], v[24:25], v[42:43] neg_lo:[0,1] neg_hi:[0,1]
	v_pk_fma_f32 v[10:11], v[30:31], v[16:17], v[8:9] op_sel:[0,0,1] op_sel_hi:[1,1,0]
	v_pk_fma_f32 v[8:9], v[30:31], v[16:17], v[8:9] op_sel:[0,0,1] op_sel_hi:[1,0,0] neg_lo:[1,0,0] neg_hi:[1,0,0]
	s_waitcnt vmcnt(2)
	v_pk_mul_f32 v[30:31], v[32:33], v[18:19] op_sel:[0,1]
	v_mov_b32_e32 v11, v9
	v_pk_add_f32 v[16:17], v[26:27], v[10:11] neg_lo:[0,1] neg_hi:[0,1]
	ds_read2_b64 v[8:11], v13 offset0:48 offset1:64
	v_pk_fma_f32 v[42:43], v[32:33], v[18:19], v[30:31] op_sel:[0,0,1] op_sel_hi:[1,1,0]
	v_pk_fma_f32 v[18:19], v[32:33], v[18:19], v[30:31] op_sel:[0,0,1] op_sel_hi:[1,0,0] neg_lo:[1,0,0] neg_hi:[1,0,0]
	s_waitcnt vmcnt(1)
	v_pk_mul_f32 v[30:31], v[34:35], v[20:21] op_sel:[0,1]
	v_mov_b32_e32 v43, v19
	v_pk_fma_f32 v[32:33], v[34:35], v[20:21], v[30:31] op_sel:[0,0,1] op_sel_hi:[1,1,0]
	v_pk_fma_f32 v[20:21], v[34:35], v[20:21], v[30:31] op_sel:[0,0,1] op_sel_hi:[1,0,0] neg_lo:[1,0,0] neg_hi:[1,0,0]
	s_waitcnt vmcnt(0)
	v_pk_mul_f32 v[30:31], v[22:23], v[36:37] op_sel:[0,1]
	v_mov_b32_e32 v33, v21
	s_waitcnt lgkmcnt(0)
	v_pk_add_f32 v[20:21], v[10:11], v[32:33] neg_lo:[0,1] neg_hi:[0,1]
	v_pk_fma_f32 v[32:33], v[22:23], v[36:37], v[30:31] op_sel:[0,0,1] op_sel_hi:[1,1,0]
	v_pk_fma_f32 v[22:23], v[22:23], v[36:37], v[30:31] op_sel:[0,0,1] op_sel_hi:[1,0,0] neg_lo:[0,0,1] neg_hi:[0,0,1]
	v_pk_add_f32 v[18:19], v[8:9], v[42:43] neg_lo:[0,1] neg_hi:[0,1]
	v_mov_b32_e32 v33, v23
	v_pk_add_f32 v[22:23], v[40:41], v[32:33] neg_lo:[0,1] neg_hi:[0,1]
	v_pk_fma_f32 v[24:25], v[24:25], 2.0, v[28:29] op_sel_hi:[1,0,1] neg_lo:[0,0,1] neg_hi:[0,0,1]
	v_pk_fma_f32 v[26:27], v[26:27], 2.0, v[16:17] op_sel_hi:[1,0,1] neg_lo:[0,0,1] neg_hi:[0,0,1]
	;; [unrolled: 1-line block ×5, first 2 shown]
	s_barrier
	ds_write2_b64 v12, v[14:15], v[38:39] offset1:96
	ds_write2_b64 v13, v[24:25], v[26:27] offset0:16 offset1:32
	ds_write2_b64 v13, v[16:17], v[18:19] offset0:128 offset1:144
	;; [unrolled: 1-line block ×5, first 2 shown]
	s_waitcnt lgkmcnt(0)
	s_barrier
	s_and_saveexec_b64 s[0:1], vcc
	s_cbranch_execz .LBB0_21
; %bb.20:
	v_mul_lo_u32 v6, s3, v4
	v_mul_lo_u32 v8, s2, v5
	v_mad_u64_u32 v[4:5], s[0:1], s2, v4, 0
	v_lshl_add_u32 v14, v0, 3, v1
	v_add3_u32 v5, v5, v8, v6
	ds_read2_b64 v[8:11], v14 offset1:16
	v_lshl_add_u64 v[4:5], v[4:5], 3, s[6:7]
	v_mov_b32_e32 v1, v7
	v_lshl_add_u64 v[12:13], v[2:3], 3, v[4:5]
	v_lshl_add_u64 v[2:3], v[0:1], 3, v[12:13]
	s_waitcnt lgkmcnt(0)
	global_store_dwordx2 v[2:3], v[8:9], off
	ds_read2_b64 v[2:5], v14 offset0:32 offset1:48
	v_add_u32_e32 v6, 16, v0
	v_lshl_add_u64 v[8:9], v[6:7], 3, v[12:13]
	v_add_u32_e32 v6, 32, v0
	global_store_dwordx2 v[8:9], v[10:11], off
	v_lshl_add_u64 v[8:9], v[6:7], 3, v[12:13]
	s_waitcnt lgkmcnt(0)
	global_store_dwordx2 v[8:9], v[2:3], off
	ds_read2_b64 v[8:11], v14 offset0:64 offset1:80
	v_add_u32_e32 v6, 48, v0
	v_lshl_add_u64 v[2:3], v[6:7], 3, v[12:13]
	v_add_u32_e32 v6, 64, v0
	global_store_dwordx2 v[2:3], v[4:5], off
	;; [unrolled: 8-line block ×5, first 2 shown]
	v_lshl_add_u64 v[8:9], v[6:7], 3, v[12:13]
	v_add_u32_e32 v6, 0xb0, v0
	v_lshl_add_u64 v[0:1], v[6:7], 3, v[12:13]
	s_waitcnt lgkmcnt(0)
	global_store_dwordx2 v[8:9], v[2:3], off
	global_store_dwordx2 v[0:1], v[4:5], off
.LBB0_21:
	s_endpgm
	.section	.rodata,"a",@progbits
	.p2align	6, 0x0
	.amdhsa_kernel fft_rtc_back_len192_factors_6_4_4_2_wgs_128_tpt_16_halfLds_sp_op_CI_CI_unitstride_sbrr_C2R_dirReg
		.amdhsa_group_segment_fixed_size 0
		.amdhsa_private_segment_fixed_size 0
		.amdhsa_kernarg_size 104
		.amdhsa_user_sgpr_count 2
		.amdhsa_user_sgpr_dispatch_ptr 0
		.amdhsa_user_sgpr_queue_ptr 0
		.amdhsa_user_sgpr_kernarg_segment_ptr 1
		.amdhsa_user_sgpr_dispatch_id 0
		.amdhsa_user_sgpr_kernarg_preload_length 0
		.amdhsa_user_sgpr_kernarg_preload_offset 0
		.amdhsa_user_sgpr_private_segment_size 0
		.amdhsa_uses_dynamic_stack 0
		.amdhsa_enable_private_segment 0
		.amdhsa_system_sgpr_workgroup_id_x 1
		.amdhsa_system_sgpr_workgroup_id_y 0
		.amdhsa_system_sgpr_workgroup_id_z 0
		.amdhsa_system_sgpr_workgroup_info 0
		.amdhsa_system_vgpr_workitem_id 0
		.amdhsa_next_free_vgpr 62
		.amdhsa_next_free_sgpr 28
		.amdhsa_accum_offset 64
		.amdhsa_reserve_vcc 1
		.amdhsa_float_round_mode_32 0
		.amdhsa_float_round_mode_16_64 0
		.amdhsa_float_denorm_mode_32 3
		.amdhsa_float_denorm_mode_16_64 3
		.amdhsa_dx10_clamp 1
		.amdhsa_ieee_mode 1
		.amdhsa_fp16_overflow 0
		.amdhsa_tg_split 0
		.amdhsa_exception_fp_ieee_invalid_op 0
		.amdhsa_exception_fp_denorm_src 0
		.amdhsa_exception_fp_ieee_div_zero 0
		.amdhsa_exception_fp_ieee_overflow 0
		.amdhsa_exception_fp_ieee_underflow 0
		.amdhsa_exception_fp_ieee_inexact 0
		.amdhsa_exception_int_div_zero 0
	.end_amdhsa_kernel
	.text
.Lfunc_end0:
	.size	fft_rtc_back_len192_factors_6_4_4_2_wgs_128_tpt_16_halfLds_sp_op_CI_CI_unitstride_sbrr_C2R_dirReg, .Lfunc_end0-fft_rtc_back_len192_factors_6_4_4_2_wgs_128_tpt_16_halfLds_sp_op_CI_CI_unitstride_sbrr_C2R_dirReg
                                        ; -- End function
	.section	.AMDGPU.csdata,"",@progbits
; Kernel info:
; codeLenInByte = 5864
; NumSgprs: 34
; NumVgprs: 62
; NumAgprs: 0
; TotalNumVgprs: 62
; ScratchSize: 0
; MemoryBound: 0
; FloatMode: 240
; IeeeMode: 1
; LDSByteSize: 0 bytes/workgroup (compile time only)
; SGPRBlocks: 4
; VGPRBlocks: 7
; NumSGPRsForWavesPerEU: 34
; NumVGPRsForWavesPerEU: 62
; AccumOffset: 64
; Occupancy: 8
; WaveLimiterHint : 1
; COMPUTE_PGM_RSRC2:SCRATCH_EN: 0
; COMPUTE_PGM_RSRC2:USER_SGPR: 2
; COMPUTE_PGM_RSRC2:TRAP_HANDLER: 0
; COMPUTE_PGM_RSRC2:TGID_X_EN: 1
; COMPUTE_PGM_RSRC2:TGID_Y_EN: 0
; COMPUTE_PGM_RSRC2:TGID_Z_EN: 0
; COMPUTE_PGM_RSRC2:TIDIG_COMP_CNT: 0
; COMPUTE_PGM_RSRC3_GFX90A:ACCUM_OFFSET: 15
; COMPUTE_PGM_RSRC3_GFX90A:TG_SPLIT: 0
	.text
	.p2alignl 6, 3212836864
	.fill 256, 4, 3212836864
	.type	__hip_cuid_a95574c585bc7954,@object ; @__hip_cuid_a95574c585bc7954
	.section	.bss,"aw",@nobits
	.globl	__hip_cuid_a95574c585bc7954
__hip_cuid_a95574c585bc7954:
	.byte	0                               ; 0x0
	.size	__hip_cuid_a95574c585bc7954, 1

	.ident	"AMD clang version 19.0.0git (https://github.com/RadeonOpenCompute/llvm-project roc-6.4.0 25133 c7fe45cf4b819c5991fe208aaa96edf142730f1d)"
	.section	".note.GNU-stack","",@progbits
	.addrsig
	.addrsig_sym __hip_cuid_a95574c585bc7954
	.amdgpu_metadata
---
amdhsa.kernels:
  - .agpr_count:     0
    .args:
      - .actual_access:  read_only
        .address_space:  global
        .offset:         0
        .size:           8
        .value_kind:     global_buffer
      - .offset:         8
        .size:           8
        .value_kind:     by_value
      - .actual_access:  read_only
        .address_space:  global
        .offset:         16
        .size:           8
        .value_kind:     global_buffer
      - .actual_access:  read_only
        .address_space:  global
        .offset:         24
        .size:           8
        .value_kind:     global_buffer
      - .actual_access:  read_only
        .address_space:  global
        .offset:         32
        .size:           8
        .value_kind:     global_buffer
      - .offset:         40
        .size:           8
        .value_kind:     by_value
      - .actual_access:  read_only
        .address_space:  global
        .offset:         48
        .size:           8
        .value_kind:     global_buffer
      - .actual_access:  read_only
        .address_space:  global
        .offset:         56
        .size:           8
        .value_kind:     global_buffer
      - .offset:         64
        .size:           4
        .value_kind:     by_value
      - .actual_access:  read_only
        .address_space:  global
        .offset:         72
        .size:           8
        .value_kind:     global_buffer
      - .actual_access:  read_only
        .address_space:  global
        .offset:         80
        .size:           8
        .value_kind:     global_buffer
      - .actual_access:  read_only
        .address_space:  global
        .offset:         88
        .size:           8
        .value_kind:     global_buffer
      - .actual_access:  write_only
        .address_space:  global
        .offset:         96
        .size:           8
        .value_kind:     global_buffer
    .group_segment_fixed_size: 0
    .kernarg_segment_align: 8
    .kernarg_segment_size: 104
    .language:       OpenCL C
    .language_version:
      - 2
      - 0
    .max_flat_workgroup_size: 128
    .name:           fft_rtc_back_len192_factors_6_4_4_2_wgs_128_tpt_16_halfLds_sp_op_CI_CI_unitstride_sbrr_C2R_dirReg
    .private_segment_fixed_size: 0
    .sgpr_count:     34
    .sgpr_spill_count: 0
    .symbol:         fft_rtc_back_len192_factors_6_4_4_2_wgs_128_tpt_16_halfLds_sp_op_CI_CI_unitstride_sbrr_C2R_dirReg.kd
    .uniform_work_group_size: 1
    .uses_dynamic_stack: false
    .vgpr_count:     62
    .vgpr_spill_count: 0
    .wavefront_size: 64
amdhsa.target:   amdgcn-amd-amdhsa--gfx950
amdhsa.version:
  - 1
  - 2
...

	.end_amdgpu_metadata
